;; amdgpu-corpus repo=ROCm/rocFFT kind=compiled arch=gfx1030 opt=O3
	.text
	.amdgcn_target "amdgcn-amd-amdhsa--gfx1030"
	.amdhsa_code_object_version 6
	.protected	bluestein_single_back_len96_dim1_dp_op_CI_CI ; -- Begin function bluestein_single_back_len96_dim1_dp_op_CI_CI
	.globl	bluestein_single_back_len96_dim1_dp_op_CI_CI
	.p2align	8
	.type	bluestein_single_back_len96_dim1_dp_op_CI_CI,@function
bluestein_single_back_len96_dim1_dp_op_CI_CI: ; @bluestein_single_back_len96_dim1_dp_op_CI_CI
; %bb.0:
	s_load_dwordx4 s[16:19], s[4:5], 0x28
	v_lshrrev_b32_e32 v24, 4, v0
	v_mov_b32_e32 v149, 0
	s_mov_b32 s0, exec_lo
	v_lshl_or_b32 v148, s6, 3, v24
	s_waitcnt lgkmcnt(0)
	v_cmpx_gt_u64_e64 s[16:17], v[148:149]
	s_cbranch_execz .LBB0_10
; %bb.1:
	s_clause 0x1
	s_load_dwordx4 s[0:3], s[4:5], 0x18
	s_load_dwordx4 s[8:11], s[4:5], 0x0
	v_and_b32_e32 v151, 15, v0
	v_mul_u32_u24_e32 v156, 0x60, v24
	s_mov_b32 s6, 0xe8584caa
	s_mov_b32 s7, 0x3febb67a
	s_load_dwordx2 s[4:5], s[4:5], 0x38
	v_lshlrev_b32_e32 v154, 4, v151
	v_or_b32_e32 v24, v156, v151
                                        ; implicit-def: $vgpr108_vgpr109
                                        ; implicit-def: $vgpr116_vgpr117
                                        ; implicit-def: $vgpr144_vgpr145
                                        ; implicit-def: $vgpr140_vgpr141
                                        ; implicit-def: $vgpr132_vgpr133
                                        ; implicit-def: $vgpr136_vgpr137
                                        ; implicit-def: $vgpr124_vgpr125
                                        ; implicit-def: $vgpr128_vgpr129
                                        ; implicit-def: $vgpr120_vgpr121
                                        ; implicit-def: $vgpr112_vgpr113
	v_lshl_or_b32 v152, v156, 4, v154
	v_lshlrev_b32_e32 v153, 4, v24
	s_waitcnt lgkmcnt(0)
	s_load_dwordx4 s[12:15], s[0:1], 0x0
	s_waitcnt lgkmcnt(0)
	v_mad_u64_u32 v[0:1], null, s14, v148, 0
	v_mad_u64_u32 v[2:3], null, s12, v151, 0
	s_lshl_b64 s[0:1], s[12:13], 8
	s_mov_b32 s12, s6
	v_mad_u64_u32 v[4:5], null, s15, v148, v[1:2]
	v_mad_u64_u32 v[5:6], null, s13, v151, v[3:4]
	v_mov_b32_e32 v1, v4
	s_mov_b32 s13, 0xbfebb67a
	v_lshlrev_b64 v[0:1], 4, v[0:1]
	v_mov_b32_e32 v3, v5
	v_add_co_u32 v0, vcc_lo, s18, v0
	v_lshlrev_b64 v[2:3], 4, v[2:3]
	v_add_co_ci_u32_e32 v1, vcc_lo, s19, v1, vcc_lo
	v_add_co_u32 v16, vcc_lo, v0, v2
	v_add_co_ci_u32_e32 v17, vcc_lo, v1, v3, vcc_lo
	s_clause 0x1
	global_load_dwordx4 v[0:3], v154, s[8:9]
	global_load_dwordx4 v[4:7], v154, s[8:9] offset:256
	v_add_co_u32 v18, vcc_lo, v16, s0
	v_add_co_ci_u32_e32 v19, vcc_lo, s1, v17, vcc_lo
	s_clause 0x1
	global_load_dwordx4 v[8:11], v154, s[8:9] offset:512
	global_load_dwordx4 v[12:15], v154, s[8:9] offset:768
	v_add_co_u32 v20, vcc_lo, v18, s0
	v_add_co_ci_u32_e32 v21, vcc_lo, s1, v19, vcc_lo
	global_load_dwordx4 v[25:28], v[16:17], off
	v_add_co_u32 v22, vcc_lo, v20, s0
	v_add_co_ci_u32_e32 v23, vcc_lo, s1, v21, vcc_lo
	s_clause 0x1
	global_load_dwordx4 v[29:32], v[18:19], off
	global_load_dwordx4 v[33:36], v[20:21], off
	v_add_co_u32 v16, vcc_lo, v22, s0
	v_add_co_ci_u32_e32 v17, vcc_lo, s1, v23, vcc_lo
	v_add_co_u32 v45, vcc_lo, v16, s0
	v_add_co_ci_u32_e32 v46, vcc_lo, s1, v17, vcc_lo
	s_clause 0x1
	global_load_dwordx4 v[37:40], v[22:23], off
	global_load_dwordx4 v[41:44], v[16:17], off
	s_clause 0x1
	global_load_dwordx4 v[16:19], v154, s[8:9] offset:1024
	global_load_dwordx4 v[20:23], v154, s[8:9] offset:1280
	global_load_dwordx4 v[45:48], v[45:46], off
	s_load_dwordx4 s[0:3], s[2:3], 0x0
	v_cmp_gt_u32_e32 vcc_lo, 6, v151
	s_waitcnt vmcnt(7)
	v_mul_f64 v[49:50], v[27:28], v[2:3]
	v_mul_f64 v[51:52], v[25:26], v[2:3]
	s_waitcnt vmcnt(6)
	v_mul_f64 v[53:54], v[31:32], v[6:7]
	v_mul_f64 v[55:56], v[29:30], v[6:7]
	s_waitcnt vmcnt(5)
	v_mul_f64 v[57:58], v[35:36], v[10:11]
	v_mul_f64 v[59:60], v[33:34], v[10:11]
	s_waitcnt vmcnt(4)
	v_mul_f64 v[61:62], v[39:40], v[14:15]
	v_mul_f64 v[63:64], v[37:38], v[14:15]
	s_waitcnt vmcnt(2)
	v_mul_f64 v[65:66], v[43:44], v[18:19]
	v_mul_f64 v[67:68], v[41:42], v[18:19]
	s_waitcnt vmcnt(0)
	v_mul_f64 v[69:70], v[47:48], v[22:23]
	v_mul_f64 v[71:72], v[45:46], v[22:23]
	v_fma_f64 v[25:26], v[25:26], v[0:1], v[49:50]
	v_fma_f64 v[27:28], v[27:28], v[0:1], -v[51:52]
	v_fma_f64 v[29:30], v[29:30], v[4:5], v[53:54]
	v_fma_f64 v[31:32], v[31:32], v[4:5], -v[55:56]
	;; [unrolled: 2-line block ×6, first 2 shown]
	ds_write_b128 v153, v[25:28]
	ds_write_b128 v153, v[29:32] offset:256
	ds_write_b128 v152, v[33:36] offset:512
	;; [unrolled: 1-line block ×5, first 2 shown]
	s_waitcnt lgkmcnt(0)
	s_barrier
	buffer_gl0_inv
	ds_read_b128 v[24:27], v152 offset:1280
	ds_read_b128 v[28:31], v152 offset:768
	;; [unrolled: 1-line block ×5, first 2 shown]
	ds_read_b128 v[44:47], v153
	s_waitcnt lgkmcnt(0)
	s_barrier
	buffer_gl0_inv
	v_add_f64 v[48:49], v[30:31], v[26:27]
	v_add_f64 v[50:51], v[28:29], v[24:25]
	v_add_f64 v[52:53], v[30:31], -v[26:27]
	v_add_f64 v[54:55], v[28:29], -v[24:25]
	v_add_f64 v[56:57], v[32:33], v[36:37]
	v_add_f64 v[58:59], v[34:35], v[38:39]
	;; [unrolled: 1-line block ×4, first 2 shown]
	v_fma_f64 v[48:49], v[48:49], -0.5, v[42:43]
	v_fma_f64 v[50:51], v[50:51], -0.5, v[40:41]
	;; [unrolled: 1-line block ×4, first 2 shown]
	v_add_f64 v[24:25], v[28:29], v[24:25]
	v_add_f64 v[26:27], v[30:31], v[26:27]
	v_fma_f64 v[60:61], v[54:55], s[12:13], v[48:49]
	v_fma_f64 v[62:63], v[52:53], s[12:13], v[50:51]
	;; [unrolled: 1-line block ×4, first 2 shown]
	v_add_f64 v[52:53], v[44:45], v[32:33]
	v_add_f64 v[54:55], v[34:35], -v[38:39]
	v_add_f64 v[34:35], v[46:47], v[34:35]
	v_add_f64 v[32:33], v[32:33], -v[36:37]
	v_mul_f64 v[44:45], v[60:61], s[6:7]
	v_mul_f64 v[46:47], v[62:63], -0.5
	v_mul_f64 v[56:57], v[50:51], s[12:13]
	v_mul_f64 v[58:59], v[48:49], -0.5
	v_add_f64 v[36:37], v[52:53], v[36:37]
	v_fma_f64 v[28:29], v[54:55], s[6:7], v[40:41]
	v_add_f64 v[34:35], v[34:35], v[38:39]
	v_fma_f64 v[30:31], v[54:55], s[12:13], v[40:41]
	v_fma_f64 v[38:39], v[32:33], s[12:13], v[42:43]
	v_fma_f64 v[32:33], v[32:33], s[6:7], v[42:43]
	v_fma_f64 v[40:41], v[50:51], 0.5, v[44:45]
	v_fma_f64 v[42:43], v[48:49], s[6:7], v[46:47]
	v_fma_f64 v[44:45], v[60:61], 0.5, v[56:57]
	v_fma_f64 v[46:47], v[62:63], s[12:13], v[58:59]
	v_add_f64 v[84:85], v[36:37], v[24:25]
	v_add_f64 v[92:93], v[36:37], -v[24:25]
	v_add_f64 v[86:87], v[34:35], v[26:27]
	v_add_f64 v[94:95], v[34:35], -v[26:27]
	v_mul_u32_u24_e32 v24, 6, v151
	v_add_co_u32 v149, s6, s8, v154
	v_add_co_ci_u32_e64 v150, null, s9, 0, s6
	v_add_lshl_u32 v155, v156, v24, 4
	v_add_f64 v[88:89], v[28:29], v[40:41]
	v_add_f64 v[96:97], v[30:31], v[42:43]
	;; [unrolled: 1-line block ×4, first 2 shown]
	v_add_f64 v[100:101], v[28:29], -v[40:41]
	v_add_f64 v[104:105], v[30:31], -v[42:43]
	;; [unrolled: 1-line block ×4, first 2 shown]
	ds_write_b128 v155, v[84:87]
	ds_write_b128 v155, v[92:95] offset:48
	ds_write_b128 v155, v[88:91] offset:16
	;; [unrolled: 1-line block ×5, first 2 shown]
	s_waitcnt lgkmcnt(0)
	s_barrier
	buffer_gl0_inv
	s_and_saveexec_b32 s6, vcc_lo
	s_cbranch_execz .LBB0_3
; %bb.2:
	ds_read_b128 v[84:87], v153
	ds_read_b128 v[88:91], v153 offset:96
	ds_read_b128 v[96:99], v153 offset:192
	;; [unrolled: 1-line block ×15, first 2 shown]
.LBB0_3:
	s_or_b32 exec_lo, exec_lo, s6
	v_mul_lo_u16 v24, v151, 43
	v_mov_b32_e32 v25, 4
	s_mov_b32 s6, 0x667f3bcd
	s_mov_b32 s7, 0xbfe6a09e
	;; [unrolled: 1-line block ×3, first 2 shown]
	v_lshrrev_b16 v24, 8, v24
	s_mov_b32 s13, 0xbfed906b
	s_mov_b32 s15, 0x3fed906b
	;; [unrolled: 1-line block ×4, first 2 shown]
	v_mul_lo_u16 v24, v24, 6
	s_mov_b32 s17, 0xbfd87de2
	s_mov_b32 s19, 0x3fd87de2
	;; [unrolled: 1-line block ×3, first 2 shown]
	v_sub_nc_u16 v24, v151, v24
	v_mul_lo_u16 v24, v24, 15
	v_lshlrev_b32_sdwa v76, v25, v24 dst_sel:DWORD dst_unused:UNUSED_PAD src0_sel:DWORD src1_sel:BYTE_0
	s_clause 0xe
	global_load_dwordx4 v[24:27], v76, s[10:11]
	global_load_dwordx4 v[36:39], v76, s[10:11] offset:16
	global_load_dwordx4 v[32:35], v76, s[10:11] offset:32
	;; [unrolled: 1-line block ×14, first 2 shown]
	s_mov_b32 s11, 0x3fe6a09e
	s_mov_b32 s10, s6
	s_waitcnt vmcnt(14) lgkmcnt(14)
	v_mul_f64 v[157:158], v[90:91], v[26:27]
	v_mul_f64 v[159:160], v[88:89], v[26:27]
	s_waitcnt vmcnt(13) lgkmcnt(13)
	v_mul_f64 v[161:162], v[98:99], v[38:39]
	v_mul_f64 v[163:164], v[96:97], v[38:39]
	;; [unrolled: 3-line block ×15, first 2 shown]
	v_fma_f64 v[88:89], v[88:89], v[24:25], -v[157:158]
	v_fma_f64 v[90:91], v[90:91], v[24:25], v[159:160]
	v_fma_f64 v[96:97], v[96:97], v[36:37], -v[161:162]
	v_fma_f64 v[98:99], v[98:99], v[36:37], v[163:164]
	;; [unrolled: 2-line block ×6, first 2 shown]
	v_fma_f64 v[114:115], v[114:115], v[48:49], v[183:184]
	v_fma_f64 v[120:121], v[120:121], v[40:41], -v[185:186]
	v_fma_f64 v[122:123], v[122:123], v[40:41], v[187:188]
	v_fma_f64 v[136:137], v[136:137], v[60:61], -v[201:202]
	;; [unrolled: 2-line block ×5, first 2 shown]
	v_fma_f64 v[118:119], v[118:119], v[52:53], v[191:192]
	v_fma_f64 v[134:135], v[134:135], v[72:73], v[207:208]
	v_fma_f64 v[124:125], v[124:125], v[64:65], -v[197:198]
	v_fma_f64 v[146:147], v[146:147], v[76:77], v[215:216]
	v_fma_f64 v[112:113], v[112:113], v[48:49], -v[181:182]
	v_fma_f64 v[132:133], v[132:133], v[72:73], -v[205:206]
	v_fma_f64 v[126:127], v[126:127], v[64:65], v[199:200]
	v_fma_f64 v[144:145], v[144:145], v[76:77], -v[213:214]
	v_add_f64 v[120:121], v[84:85], -v[120:121]
	v_add_f64 v[122:123], v[86:87], -v[122:123]
	;; [unrolled: 1-line block ×16, first 2 shown]
	v_fma_f64 v[84:85], v[84:85], 2.0, -v[120:121]
	v_fma_f64 v[86:87], v[86:87], 2.0, -v[122:123]
	v_fma_f64 v[100:101], v[100:101], 2.0, -v[136:137]
	v_fma_f64 v[102:103], v[102:103], 2.0, -v[138:139]
	v_add_f64 v[138:139], v[120:121], -v[138:139]
	v_add_f64 v[136:137], v[122:123], v[136:137]
	v_fma_f64 v[108:109], v[108:109], 2.0, -v[140:141]
	v_fma_f64 v[110:111], v[110:111], 2.0, -v[142:143]
	v_add_f64 v[140:141], v[130:131], v[140:141]
	v_add_f64 v[142:143], v[128:129], -v[142:143]
	v_add_f64 v[157:158], v[116:117], -v[134:135]
	v_fma_f64 v[96:97], v[96:97], 2.0, -v[128:129]
	v_add_f64 v[159:160], v[124:125], -v[146:147]
	v_fma_f64 v[98:99], v[98:99], 2.0, -v[130:131]
	v_add_f64 v[161:162], v[118:119], v[132:133]
	v_fma_f64 v[88:89], v[88:89], 2.0, -v[116:117]
	v_add_f64 v[163:164], v[126:127], v[144:145]
	v_fma_f64 v[90:91], v[90:91], 2.0, -v[118:119]
	v_fma_f64 v[104:105], v[104:105], 2.0, -v[132:133]
	;; [unrolled: 1-line block ×7, first 2 shown]
	v_add_f64 v[100:101], v[84:85], -v[100:101]
	v_add_f64 v[102:103], v[86:87], -v[102:103]
	v_fma_f64 v[120:121], v[120:121], 2.0, -v[138:139]
	v_fma_f64 v[122:123], v[122:123], 2.0, -v[136:137]
	;; [unrolled: 1-line block ×5, first 2 shown]
	v_add_f64 v[108:109], v[96:97], -v[108:109]
	v_fma_f64 v[124:125], v[124:125], 2.0, -v[159:160]
	v_add_f64 v[110:111], v[98:99], -v[110:111]
	v_fma_f64 v[118:119], v[118:119], 2.0, -v[161:162]
	v_fma_f64 v[132:133], v[142:143], s[10:11], v[138:139]
	v_fma_f64 v[126:127], v[126:127], 2.0, -v[163:164]
	v_fma_f64 v[134:135], v[140:141], s[10:11], v[136:137]
	v_add_f64 v[104:105], v[88:89], -v[104:105]
	v_add_f64 v[106:107], v[90:91], -v[106:107]
	v_fma_f64 v[144:145], v[159:160], s[10:11], v[157:158]
	v_fma_f64 v[146:147], v[163:164], s[10:11], v[161:162]
	v_add_f64 v[114:115], v[94:95], -v[114:115]
	v_add_f64 v[112:113], v[92:93], -v[112:113]
	v_fma_f64 v[84:85], v[84:85], 2.0, -v[100:101]
	v_fma_f64 v[86:87], v[86:87], 2.0, -v[102:103]
	v_fma_f64 v[169:170], v[130:131], s[6:7], v[122:123]
	v_fma_f64 v[171:172], v[128:129], s[6:7], v[120:121]
	v_add_f64 v[175:176], v[102:103], v[108:109]
	v_fma_f64 v[165:166], v[124:125], s[6:7], v[116:117]
	v_add_f64 v[173:174], v[100:101], -v[110:111]
	v_fma_f64 v[96:97], v[96:97], 2.0, -v[108:109]
	v_fma_f64 v[181:182], v[140:141], s[6:7], v[132:133]
	v_fma_f64 v[167:168], v[126:127], s[6:7], v[118:119]
	;; [unrolled: 1-line block ×3, first 2 shown]
	v_fma_f64 v[88:89], v[88:89], 2.0, -v[104:105]
	v_fma_f64 v[90:91], v[90:91], 2.0, -v[106:107]
	v_fma_f64 v[163:164], v[163:164], s[6:7], v[144:145]
	v_fma_f64 v[159:160], v[159:160], s[10:11], v[146:147]
	v_add_f64 v[177:178], v[104:105], -v[114:115]
	v_add_f64 v[179:180], v[106:107], v[112:113]
	v_fma_f64 v[92:93], v[92:93], 2.0, -v[112:113]
	v_fma_f64 v[94:95], v[94:95], 2.0, -v[114:115]
	;; [unrolled: 1-line block ×3, first 2 shown]
	v_fma_f64 v[144:145], v[128:129], s[10:11], v[169:170]
	v_fma_f64 v[134:135], v[102:103], 2.0, -v[175:176]
	v_fma_f64 v[108:109], v[126:127], s[6:7], v[165:166]
	v_fma_f64 v[126:127], v[100:101], 2.0, -v[173:174]
	v_fma_f64 v[128:129], v[138:139], 2.0, -v[181:182]
	v_fma_f64 v[110:111], v[124:125], s[10:11], v[167:168]
	v_fma_f64 v[124:125], v[130:131], s[6:7], v[171:172]
	v_fma_f64 v[142:143], v[136:137], 2.0, -v[183:184]
	v_add_f64 v[130:131], v[84:85], -v[96:97]
	v_fma_f64 v[112:113], v[157:158], 2.0, -v[163:164]
	v_fma_f64 v[114:115], v[161:162], 2.0, -v[159:160]
	;; [unrolled: 1-line block ×4, first 2 shown]
	v_fma_f64 v[100:101], v[177:178], s[10:11], v[173:174]
	v_fma_f64 v[102:103], v[179:180], s[10:11], v[175:176]
	v_add_f64 v[92:93], v[88:89], -v[92:93]
	v_add_f64 v[94:95], v[90:91], -v[94:95]
	;; [unrolled: 1-line block ×3, first 2 shown]
	v_fma_f64 v[96:97], v[163:164], s[14:15], v[181:182]
	v_fma_f64 v[138:139], v[122:123], 2.0, -v[144:145]
	v_fma_f64 v[98:99], v[159:160], s[14:15], v[183:184]
	v_fma_f64 v[157:158], v[116:117], 2.0, -v[108:109]
	v_fma_f64 v[161:162], v[118:119], 2.0, -v[110:111]
	;; [unrolled: 1-line block ×3, first 2 shown]
	v_fma_f64 v[185:186], v[110:111], s[18:19], v[144:145]
	v_fma_f64 v[187:188], v[108:109], s[18:19], v[124:125]
	;; [unrolled: 1-line block ×6, first 2 shown]
	v_fma_f64 v[136:137], v[84:85], 2.0, -v[130:131]
	v_fma_f64 v[116:117], v[179:180], s[6:7], v[100:101]
	v_fma_f64 v[88:89], v[88:89], 2.0, -v[92:93]
	v_fma_f64 v[90:91], v[90:91], 2.0, -v[94:95]
	;; [unrolled: 1-line block ×3, first 2 shown]
	v_fma_f64 v[118:119], v[177:178], s[10:11], v[102:103]
	v_fma_f64 v[120:121], v[159:160], s[16:17], v[96:97]
	;; [unrolled: 1-line block ×3, first 2 shown]
	v_add_f64 v[100:101], v[130:131], -v[94:95]
	v_add_f64 v[102:103], v[146:147], v[92:93]
	v_fma_f64 v[159:160], v[161:162], s[12:13], v[138:139]
	v_fma_f64 v[86:87], v[157:158], s[12:13], v[132:133]
	;; [unrolled: 1-line block ×8, first 2 shown]
	v_add_f64 v[112:113], v[136:137], -v[88:89]
	v_fma_f64 v[108:109], v[173:174], 2.0, -v[116:117]
	v_add_f64 v[114:115], v[140:141], -v[90:91]
	v_fma_f64 v[110:111], v[175:176], 2.0, -v[118:119]
	v_fma_f64 v[84:85], v[181:182], 2.0, -v[120:121]
	v_fma_f64 v[90:91], v[157:158], s[18:19], v[159:160]
	v_fma_f64 v[88:89], v[161:162], s[16:17], v[86:87]
	v_fma_f64 v[86:87], v[183:184], 2.0, -v[122:123]
	s_and_saveexec_b32 s6, vcc_lo
	s_cbranch_execz .LBB0_5
; %bb.4:
	v_fma_f64 v[167:168], v[140:141], 2.0, -v[114:115]
	v_fma_f64 v[165:166], v[136:137], 2.0, -v[112:113]
	;; [unrolled: 1-line block ×12, first 2 shown]
	ds_write_b128 v153, v[165:168]
	ds_write_b128 v153, v[136:139] offset:96
	ds_write_b128 v153, v[132:135] offset:192
	;; [unrolled: 1-line block ×15, first 2 shown]
.LBB0_5:
	s_or_b32 exec_lo, exec_lo, s6
	s_add_u32 s6, s8, 0x600
	s_addc_u32 s7, s9, 0
	s_waitcnt lgkmcnt(0)
	s_barrier
	buffer_gl0_inv
	s_clause 0x5
	global_load_dwordx4 v[124:127], v[149:150], off offset:1536
	global_load_dwordx4 v[128:131], v154, s[6:7] offset:256
	global_load_dwordx4 v[132:135], v154, s[6:7] offset:512
	;; [unrolled: 1-line block ×5, first 2 shown]
	ds_read_b128 v[157:160], v153
	ds_read_b128 v[161:164], v153 offset:256
	s_mov_b32 s6, 0xe8584caa
	s_mov_b32 s7, 0xbfebb67a
	;; [unrolled: 1-line block ×4, first 2 shown]
	s_waitcnt vmcnt(5) lgkmcnt(1)
	v_mul_f64 v[149:150], v[159:160], v[126:127]
	v_mul_f64 v[126:127], v[157:158], v[126:127]
	s_waitcnt vmcnt(4) lgkmcnt(0)
	v_mul_f64 v[165:166], v[163:164], v[130:131]
	v_mul_f64 v[130:131], v[161:162], v[130:131]
	v_fma_f64 v[157:158], v[157:158], v[124:125], -v[149:150]
	v_fma_f64 v[159:160], v[159:160], v[124:125], v[126:127]
	v_fma_f64 v[124:125], v[161:162], v[128:129], -v[165:166]
	v_fma_f64 v[126:127], v[163:164], v[128:129], v[130:131]
	v_lshl_add_u32 v149, v156, 4, v154
	ds_write_b128 v153, v[157:160]
	ds_write_b128 v153, v[124:127] offset:256
	ds_read_b128 v[124:127], v152 offset:512
	ds_read_b128 v[128:131], v149 offset:768
	;; [unrolled: 1-line block ×4, first 2 shown]
	s_waitcnt vmcnt(3) lgkmcnt(3)
	v_mul_f64 v[164:165], v[126:127], v[134:135]
	v_mul_f64 v[134:135], v[124:125], v[134:135]
	s_waitcnt vmcnt(2) lgkmcnt(2)
	v_mul_f64 v[166:167], v[130:131], v[138:139]
	v_mul_f64 v[138:139], v[128:129], v[138:139]
	;; [unrolled: 3-line block ×4, first 2 shown]
	v_fma_f64 v[124:125], v[124:125], v[132:133], -v[164:165]
	v_fma_f64 v[126:127], v[126:127], v[132:133], v[134:135]
	v_fma_f64 v[128:129], v[128:129], v[136:137], -v[166:167]
	v_fma_f64 v[130:131], v[130:131], v[136:137], v[138:139]
	;; [unrolled: 2-line block ×4, first 2 shown]
	ds_write_b128 v152, v[124:127] offset:512
	ds_write_b128 v149, v[128:131] offset:768
	;; [unrolled: 1-line block ×4, first 2 shown]
	s_waitcnt lgkmcnt(0)
	s_barrier
	buffer_gl0_inv
	ds_read_b128 v[124:127], v149 offset:768
	ds_read_b128 v[128:131], v152 offset:1280
	;; [unrolled: 1-line block ×5, first 2 shown]
	s_waitcnt lgkmcnt(3)
	v_add_f64 v[144:145], v[126:127], v[130:131]
	v_add_f64 v[156:157], v[124:125], v[128:129]
	v_add_f64 v[158:159], v[124:125], -v[128:129]
	s_waitcnt lgkmcnt(0)
	v_add_f64 v[162:163], v[136:137], v[140:141]
	v_add_f64 v[164:165], v[138:139], v[142:143]
	v_add_f64 v[166:167], v[126:127], -v[130:131]
	v_add_f64 v[170:171], v[138:139], -v[142:143]
	v_add_f64 v[124:125], v[132:133], v[124:125]
	v_add_f64 v[126:127], v[134:135], v[126:127]
	v_fma_f64 v[160:161], v[144:145], -0.5, v[134:135]
	v_fma_f64 v[156:157], v[156:157], -0.5, v[132:133]
	ds_read_b128 v[144:147], v153
	s_waitcnt lgkmcnt(0)
	s_barrier
	buffer_gl0_inv
	v_add_f64 v[128:129], v[124:125], v[128:129]
	v_add_f64 v[130:131], v[126:127], v[130:131]
	v_fma_f64 v[168:169], v[158:159], s[8:9], v[160:161]
	v_fma_f64 v[158:159], v[158:159], s[6:7], v[160:161]
	v_add_f64 v[160:161], v[144:145], v[136:137]
	v_add_f64 v[138:139], v[146:147], v[138:139]
	v_add_f64 v[136:137], v[136:137], -v[140:141]
	v_fma_f64 v[132:133], v[162:163], -0.5, v[144:145]
	v_fma_f64 v[134:135], v[164:165], -0.5, v[146:147]
	v_fma_f64 v[144:145], v[166:167], s[6:7], v[156:157]
	v_fma_f64 v[146:147], v[166:167], s[8:9], v[156:157]
	v_mul_f64 v[156:157], v[168:169], s[6:7]
	v_mul_f64 v[162:163], v[158:159], s[6:7]
	v_mul_f64 v[164:165], v[168:169], 0.5
	v_mul_f64 v[158:159], v[158:159], -0.5
	v_add_f64 v[140:141], v[160:161], v[140:141]
	v_add_f64 v[138:139], v[138:139], v[142:143]
	v_fma_f64 v[142:143], v[170:171], s[6:7], v[132:133]
	v_fma_f64 v[160:161], v[170:171], s[8:9], v[132:133]
	;; [unrolled: 1-line block ×4, first 2 shown]
	v_fma_f64 v[156:157], v[144:145], 0.5, v[156:157]
	v_fma_f64 v[162:163], v[146:147], -0.5, v[162:163]
	v_fma_f64 v[164:165], v[144:145], s[8:9], v[164:165]
	v_fma_f64 v[146:147], v[146:147], s[8:9], v[158:159]
	v_add_f64 v[124:125], v[140:141], v[128:129]
	v_add_f64 v[126:127], v[138:139], v[130:131]
	v_add_f64 v[132:133], v[140:141], -v[128:129]
	v_add_f64 v[134:135], v[138:139], -v[130:131]
	v_add_f64 v[128:129], v[142:143], v[156:157]
	v_add_f64 v[136:137], v[160:161], v[162:163]
	;; [unrolled: 1-line block ×4, first 2 shown]
	v_add_f64 v[140:141], v[142:143], -v[156:157]
	v_add_f64 v[144:145], v[160:161], -v[162:163]
	;; [unrolled: 1-line block ×4, first 2 shown]
	ds_write_b128 v155, v[124:127]
	ds_write_b128 v155, v[132:135] offset:48
	ds_write_b128 v155, v[128:131] offset:16
	;; [unrolled: 1-line block ×5, first 2 shown]
	s_waitcnt lgkmcnt(0)
	s_barrier
	buffer_gl0_inv
	s_and_saveexec_b32 s6, vcc_lo
	s_cbranch_execz .LBB0_7
; %bb.6:
	ds_read_b128 v[124:127], v153
	ds_read_b128 v[128:131], v153 offset:96
	ds_read_b128 v[136:139], v153 offset:192
	;; [unrolled: 1-line block ×15, first 2 shown]
.LBB0_7:
	s_or_b32 exec_lo, exec_lo, s6
	s_and_saveexec_b32 s10, vcc_lo
	s_cbranch_execz .LBB0_9
; %bb.8:
	s_waitcnt lgkmcnt(13)
	v_mul_f64 v[154:155], v[38:39], v[136:137]
	s_waitcnt lgkmcnt(9)
	v_mul_f64 v[158:159], v[58:59], v[110:111]
	;; [unrolled: 2-line block ×4, first 2 shown]
	v_mul_f64 v[58:59], v[58:59], v[108:109]
	v_mul_f64 v[156:157], v[70:71], v[92:93]
	;; [unrolled: 1-line block ×10, first 2 shown]
	s_waitcnt lgkmcnt(0)
	v_mul_f64 v[174:175], v[78:79], v[122:123]
	v_mul_f64 v[50:51], v[50:51], v[84:85]
	;; [unrolled: 1-line block ×8, first 2 shown]
	v_fma_f64 v[138:139], v[36:37], v[138:139], -v[154:155]
	v_fma_f64 v[108:109], v[56:57], v[108:109], v[158:159]
	v_fma_f64 v[116:117], v[80:81], v[116:117], v[160:161]
	v_fma_f64 v[154:155], v[40:41], v[114:115], -v[162:163]
	v_fma_f64 v[56:57], v[56:57], v[110:111], -v[58:59]
	v_mul_f64 v[58:59], v[26:27], v[128:129]
	v_mul_f64 v[110:111], v[54:55], v[88:89]
	v_mul_f64 v[160:161], v[46:47], v[146:147]
	v_mul_f64 v[162:163], v[74:75], v[106:107]
	v_mul_f64 v[46:47], v[46:47], v[144:145]
	v_mul_f64 v[74:75], v[74:75], v[104:105]
	v_mul_f64 v[26:27], v[26:27], v[130:131]
	v_mul_f64 v[54:55], v[54:55], v[90:91]
	v_fma_f64 v[94:95], v[68:69], v[94:95], -v[156:157]
	v_fma_f64 v[156:157], v[28:29], v[140:141], v[164:165]
	v_fma_f64 v[158:159], v[60:61], v[100:101], v[166:167]
	v_fma_f64 v[80:81], v[80:81], v[118:119], -v[82:83]
	v_fma_f64 v[36:37], v[36:37], v[136:137], v[38:39]
	v_fma_f64 v[38:39], v[68:69], v[92:93], v[70:71]
	v_fma_f64 v[68:69], v[32:33], v[134:135], -v[168:169]
	v_fma_f64 v[70:71], v[64:65], v[98:99], -v[170:171]
	v_fma_f64 v[82:83], v[48:49], v[84:85], v[172:173]
	v_fma_f64 v[84:85], v[76:77], v[120:121], v[174:175]
	v_fma_f64 v[48:49], v[48:49], v[86:87], -v[50:51]
	v_fma_f64 v[50:51], v[76:77], v[122:123], -v[78:79]
	v_fma_f64 v[32:33], v[32:33], v[132:133], v[34:35]
	v_fma_f64 v[34:35], v[64:65], v[96:97], v[66:67]
	v_fma_f64 v[58:59], v[24:25], v[130:131], -v[58:59]
	v_fma_f64 v[90:91], v[52:53], v[90:91], -v[110:111]
	v_fma_f64 v[92:93], v[44:45], v[144:145], v[160:161]
	v_fma_f64 v[98:99], v[72:73], v[104:105], v[162:163]
	v_fma_f64 v[44:45], v[44:45], v[146:147], -v[46:47]
	v_fma_f64 v[46:47], v[72:73], v[106:107], -v[74:75]
	v_fma_f64 v[24:25], v[24:25], v[128:129], v[26:27]
	v_fma_f64 v[26:27], v[52:53], v[88:89], v[54:55]
	v_fma_f64 v[28:29], v[28:29], v[142:143], -v[30:31]
	v_fma_f64 v[30:31], v[60:61], v[102:103], -v[62:63]
	v_fma_f64 v[40:41], v[40:41], v[112:113], v[42:43]
	v_add_f64 v[42:43], v[138:139], -v[94:95]
	v_add_f64 v[52:53], v[108:109], -v[116:117]
	;; [unrolled: 1-line block ×9, first 2 shown]
	s_mov_b32 s6, 0x667f3bcd
	v_add_f64 v[34:35], v[32:33], -v[34:35]
	s_mov_b32 s7, 0x3fe6a09e
	v_add_f64 v[70:71], v[58:59], -v[90:91]
	;; [unrolled: 2-line block ×6, first 2 shown]
	v_add_f64 v[40:41], v[124:125], -v[40:41]
	s_mov_b32 s12, 0xcf328d46
	v_add_f64 v[74:75], v[42:43], -v[52:53]
	v_fma_f64 v[94:95], v[126:127], 2.0, -v[54:55]
	v_add_f64 v[76:77], v[54:55], -v[60:61]
	v_fma_f64 v[56:57], v[56:57], 2.0, -v[62:63]
	v_add_f64 v[78:79], v[62:63], v[38:39]
	v_fma_f64 v[60:61], v[156:157], 2.0, -v[60:61]
	v_add_f64 v[80:81], v[64:65], -v[66:67]
	v_fma_f64 v[52:53], v[108:109], 2.0, -v[52:53]
	v_fma_f64 v[48:49], v[48:49], 2.0, -v[50:51]
	v_add_f64 v[86:87], v[50:51], v[34:35]
	v_fma_f64 v[32:33], v[32:33], 2.0, -v[34:35]
	v_fma_f64 v[58:59], v[58:59], 2.0, -v[70:71]
	s_mov_b32 s17, 0x3fd87de2
	v_add_f64 v[84:85], v[70:71], -v[72:73]
	v_fma_f64 v[62:63], v[92:93], 2.0, -v[72:73]
	v_fma_f64 v[44:45], v[44:45], 2.0, -v[46:47]
	s_mov_b32 s16, s14
	v_add_f64 v[88:89], v[46:47], v[26:27]
	v_fma_f64 v[24:25], v[24:25], 2.0, -v[26:27]
	v_fma_f64 v[28:29], v[28:29], 2.0, -v[30:31]
	v_add_f64 v[90:91], v[40:41], v[30:31]
	v_fma_f64 v[30:31], v[36:37], 2.0, -v[38:39]
	v_fma_f64 v[36:37], v[82:83], 2.0, -v[66:67]
	;; [unrolled: 1-line block ×9, first 2 shown]
	v_fma_f64 v[68:69], v[74:75], s[6:7], v[76:77]
	v_fma_f64 v[34:35], v[34:35], 2.0, -v[86:87]
	s_mov_b32 s13, 0x3fed906b
	s_mov_b32 s19, 0xbfed906b
	;; [unrolled: 1-line block ×3, first 2 shown]
	v_fma_f64 v[54:55], v[70:71], 2.0, -v[84:85]
	v_fma_f64 v[70:71], v[80:81], s[6:7], v[84:85]
	v_add_f64 v[44:45], v[58:59], -v[44:45]
	v_fma_f64 v[26:27], v[26:27], 2.0, -v[88:89]
	v_add_f64 v[62:63], v[24:25], -v[62:63]
	v_add_f64 v[28:29], v[94:95], -v[28:29]
	v_fma_f64 v[40:41], v[40:41], 2.0, -v[90:91]
	v_add_f64 v[52:53], v[30:31], -v[52:53]
	v_add_f64 v[36:37], v[32:33], -v[36:37]
	;; [unrolled: 1-line block ×4, first 2 shown]
	v_fma_f64 v[82:83], v[86:87], s[6:7], v[88:89]
	v_fma_f64 v[92:93], v[78:79], s[6:7], v[90:91]
	v_add_f64 v[48:49], v[46:47], -v[48:49]
	v_fma_f64 v[96:97], v[42:43], s[8:9], v[50:51]
	v_fma_f64 v[68:69], v[78:79], s[8:9], v[68:69]
	;; [unrolled: 1-line block ×5, first 2 shown]
	v_fma_f64 v[24:25], v[24:25], 2.0, -v[62:63]
	v_fma_f64 v[78:79], v[94:95], 2.0, -v[28:29]
	v_fma_f64 v[102:103], v[38:39], s[8:9], v[40:41]
	v_fma_f64 v[30:31], v[30:31], 2.0, -v[52:53]
	v_fma_f64 v[32:33], v[32:33], 2.0, -v[36:37]
	;; [unrolled: 1-line block ×4, first 2 shown]
	v_fma_f64 v[80:81], v[80:81], s[6:7], v[82:83]
	v_fma_f64 v[92:93], v[74:75], s[6:7], v[92:93]
	v_add_f64 v[74:75], v[28:29], -v[52:53]
	v_add_f64 v[82:83], v[44:45], -v[36:37]
	v_fma_f64 v[36:37], v[58:59], 2.0, -v[44:45]
	v_fma_f64 v[46:47], v[46:47], 2.0, -v[48:49]
	v_add_f64 v[48:49], v[48:49], v[62:63]
	v_add_f64 v[56:57], v[60:61], v[56:57]
	v_fma_f64 v[86:87], v[38:39], s[8:9], v[96:97]
	v_fma_f64 v[76:77], v[76:77], 2.0, -v[68:69]
	v_fma_f64 v[58:59], v[34:35], s[8:9], v[98:99]
	v_fma_f64 v[52:53], v[84:85], 2.0, -v[70:71]
	v_fma_f64 v[38:39], v[64:65], s[6:7], v[100:101]
	v_fma_f64 v[94:95], v[42:43], s[6:7], v[102:103]
	v_add_f64 v[32:33], v[24:25], -v[32:33]
	v_add_f64 v[64:65], v[78:79], -v[66:67]
	;; [unrolled: 1-line block ×3, first 2 shown]
	v_fma_f64 v[42:43], v[88:89], 2.0, -v[80:81]
	v_fma_f64 v[84:85], v[90:91], 2.0, -v[92:93]
	;; [unrolled: 1-line block ×4, first 2 shown]
	v_fma_f64 v[30:31], v[82:83], s[6:7], v[74:75]
	v_add_f64 v[44:45], v[36:37], -v[46:47]
	v_fma_f64 v[46:47], v[62:63], 2.0, -v[48:49]
	v_fma_f64 v[60:61], v[60:61], 2.0, -v[56:57]
	;; [unrolled: 1-line block ×3, first 2 shown]
	v_fma_f64 v[110:111], v[48:49], s[6:7], v[56:57]
	v_fma_f64 v[62:63], v[54:55], 2.0, -v[58:59]
	v_fma_f64 v[50:51], v[52:53], s[14:15], v[76:77]
	v_fma_f64 v[112:113], v[80:81], s[12:13], v[92:93]
	v_fma_f64 v[54:55], v[26:27], 2.0, -v[38:39]
	v_fma_f64 v[26:27], v[70:71], s[12:13], v[68:69]
	v_fma_f64 v[98:99], v[40:41], 2.0, -v[94:95]
	v_fma_f64 v[40:41], v[58:59], s[16:17], v[86:87]
	v_fma_f64 v[24:25], v[24:25], 2.0, -v[32:33]
	v_fma_f64 v[102:103], v[78:79], 2.0, -v[64:65]
	v_fma_f64 v[104:105], v[72:73], 2.0, -v[96:97]
	v_fma_f64 v[108:109], v[38:39], s[16:17], v[94:95]
	v_fma_f64 v[66:67], v[42:43], s[14:15], v[84:85]
	v_add_f64 v[34:35], v[64:65], -v[32:33]
	v_fma_f64 v[100:101], v[28:29], s[8:9], v[88:89]
	v_fma_f64 v[30:31], v[48:49], s[8:9], v[30:31]
	v_fma_f64 v[36:37], v[36:37], 2.0, -v[44:45]
	v_add_f64 v[32:33], v[96:97], v[44:45]
	v_fma_f64 v[72:73], v[46:47], s[8:9], v[60:61]
	v_fma_f64 v[78:79], v[62:63], s[18:19], v[90:91]
	;; [unrolled: 1-line block ×6, first 2 shown]
	v_add_f64 v[48:49], v[104:105], -v[24:25]
	v_fma_f64 v[24:25], v[70:71], s[16:17], v[112:113]
	v_fma_f64 v[40:41], v[52:53], s[12:13], v[66:67]
	v_fma_f64 v[66:67], v[64:65], 2.0, -v[34:35]
	v_fma_f64 v[46:47], v[46:47], s[8:9], v[100:101]
	v_add_f64 v[50:51], v[102:103], -v[36:37]
	v_fma_f64 v[36:37], v[58:59], s[12:13], v[108:109]
	v_fma_f64 v[44:45], v[28:29], s[6:7], v[72:73]
	;; [unrolled: 1-line block ×3, first 2 shown]
	v_fma_f64 v[64:65], v[96:97], 2.0, -v[32:33]
	v_fma_f64 v[54:55], v[54:55], s[14:15], v[78:79]
	v_fma_f64 v[58:59], v[68:69], 2.0, -v[26:27]
	v_fma_f64 v[52:53], v[62:63], s[16:17], v[106:107]
	v_fma_f64 v[62:63], v[74:75], 2.0, -v[30:31]
	v_fma_f64 v[74:75], v[76:77], 2.0, -v[42:43]
	;; [unrolled: 1-line block ×13, first 2 shown]
	ds_write_b128 v153, v[64:67] offset:384
	ds_write_b128 v153, v[80:83]
	ds_write_b128 v153, v[76:79] offset:192
	ds_write_b128 v153, v[72:75] offset:288
	;; [unrolled: 1-line block ×14, first 2 shown]
.LBB0_9:
	s_or_b32 exec_lo, exec_lo, s10
	s_waitcnt lgkmcnt(0)
	s_barrier
	buffer_gl0_inv
	ds_read_b128 v[24:27], v153
	ds_read_b128 v[28:31], v153 offset:256
	ds_read_b128 v[32:35], v152 offset:512
	;; [unrolled: 1-line block ×3, first 2 shown]
	v_mad_u64_u32 v[48:49], null, s2, v148, 0
	v_mad_u64_u32 v[50:51], null, s0, v151, 0
	ds_read_b128 v[40:43], v152 offset:1024
	ds_read_b128 v[44:47], v152 offset:1280
	v_mad_u64_u32 v[52:53], null, s3, v148, v[49:50]
	s_mov_b32 s2, 0x55555555
	s_mov_b32 s3, 0x3f855555
	s_waitcnt lgkmcnt(5)
	v_mul_f64 v[53:54], v[2:3], v[26:27]
	v_mul_f64 v[2:3], v[2:3], v[24:25]
	s_waitcnt lgkmcnt(4)
	v_mul_f64 v[55:56], v[6:7], v[30:31]
	v_mul_f64 v[6:7], v[6:7], v[28:29]
	v_mad_u64_u32 v[57:58], null, s1, v151, v[51:52]
	s_waitcnt lgkmcnt(3)
	v_mul_f64 v[58:59], v[10:11], v[34:35]
	v_mul_f64 v[10:11], v[10:11], v[32:33]
	s_waitcnt lgkmcnt(2)
	v_mul_f64 v[60:61], v[14:15], v[38:39]
	v_mul_f64 v[14:15], v[14:15], v[36:37]
	;; [unrolled: 3-line block ×4, first 2 shown]
	v_mov_b32_e32 v49, v52
	v_mov_b32_e32 v51, v57
	s_lshl_b64 s[0:1], s[0:1], 8
	v_lshlrev_b64 v[48:49], 4, v[48:49]
	v_fma_f64 v[24:25], v[0:1], v[24:25], v[53:54]
	v_fma_f64 v[2:3], v[0:1], v[26:27], -v[2:3]
	v_fma_f64 v[26:27], v[4:5], v[28:29], v[55:56]
	v_fma_f64 v[6:7], v[4:5], v[30:31], -v[6:7]
	v_lshlrev_b64 v[0:1], 4, v[50:51]
	v_add_co_u32 v4, vcc_lo, s4, v48
	v_fma_f64 v[28:29], v[8:9], v[32:33], v[58:59]
	v_fma_f64 v[10:11], v[8:9], v[34:35], -v[10:11]
	v_fma_f64 v[30:31], v[12:13], v[36:37], v[60:61]
	v_fma_f64 v[14:15], v[12:13], v[38:39], -v[14:15]
	;; [unrolled: 2-line block ×4, first 2 shown]
	v_add_co_ci_u32_e32 v5, vcc_lo, s5, v49, vcc_lo
	v_add_co_u32 v36, vcc_lo, v4, v0
	v_add_co_ci_u32_e32 v37, vcc_lo, v5, v1, vcc_lo
	v_mul_f64 v[0:1], v[24:25], s[2:3]
	v_mul_f64 v[2:3], v[2:3], s[2:3]
	v_add_co_u32 v24, vcc_lo, v36, s0
	v_mul_f64 v[4:5], v[26:27], s[2:3]
	v_mul_f64 v[6:7], v[6:7], s[2:3]
	v_add_co_ci_u32_e32 v25, vcc_lo, s1, v37, vcc_lo
	v_mul_f64 v[8:9], v[28:29], s[2:3]
	v_mul_f64 v[10:11], v[10:11], s[2:3]
	v_mul_f64 v[12:13], v[30:31], s[2:3]
	v_mul_f64 v[14:15], v[14:15], s[2:3]
	v_mul_f64 v[16:17], v[32:33], s[2:3]
	v_mul_f64 v[18:19], v[18:19], s[2:3]
	v_mul_f64 v[20:21], v[34:35], s[2:3]
	v_mul_f64 v[22:23], v[22:23], s[2:3]
	v_add_co_u32 v26, vcc_lo, v24, s0
	v_add_co_ci_u32_e32 v27, vcc_lo, s1, v25, vcc_lo
	v_add_co_u32 v28, vcc_lo, v26, s0
	v_add_co_ci_u32_e32 v29, vcc_lo, s1, v27, vcc_lo
	global_store_dwordx4 v[36:37], v[0:3], off
	v_add_co_u32 v30, vcc_lo, v28, s0
	v_add_co_ci_u32_e32 v31, vcc_lo, s1, v29, vcc_lo
	v_add_co_u32 v0, vcc_lo, v30, s0
	v_add_co_ci_u32_e32 v1, vcc_lo, s1, v31, vcc_lo
	global_store_dwordx4 v[24:25], v[4:7], off
	global_store_dwordx4 v[26:27], v[8:11], off
	;; [unrolled: 1-line block ×5, first 2 shown]
.LBB0_10:
	s_endpgm
	.section	.rodata,"a",@progbits
	.p2align	6, 0x0
	.amdhsa_kernel bluestein_single_back_len96_dim1_dp_op_CI_CI
		.amdhsa_group_segment_fixed_size 12288
		.amdhsa_private_segment_fixed_size 0
		.amdhsa_kernarg_size 104
		.amdhsa_user_sgpr_count 6
		.amdhsa_user_sgpr_private_segment_buffer 1
		.amdhsa_user_sgpr_dispatch_ptr 0
		.amdhsa_user_sgpr_queue_ptr 0
		.amdhsa_user_sgpr_kernarg_segment_ptr 1
		.amdhsa_user_sgpr_dispatch_id 0
		.amdhsa_user_sgpr_flat_scratch_init 0
		.amdhsa_user_sgpr_private_segment_size 0
		.amdhsa_wavefront_size32 1
		.amdhsa_uses_dynamic_stack 0
		.amdhsa_system_sgpr_private_segment_wavefront_offset 0
		.amdhsa_system_sgpr_workgroup_id_x 1
		.amdhsa_system_sgpr_workgroup_id_y 0
		.amdhsa_system_sgpr_workgroup_id_z 0
		.amdhsa_system_sgpr_workgroup_info 0
		.amdhsa_system_vgpr_workitem_id 0
		.amdhsa_next_free_vgpr 217
		.amdhsa_next_free_sgpr 20
		.amdhsa_reserve_vcc 1
		.amdhsa_reserve_flat_scratch 0
		.amdhsa_float_round_mode_32 0
		.amdhsa_float_round_mode_16_64 0
		.amdhsa_float_denorm_mode_32 3
		.amdhsa_float_denorm_mode_16_64 3
		.amdhsa_dx10_clamp 1
		.amdhsa_ieee_mode 1
		.amdhsa_fp16_overflow 0
		.amdhsa_workgroup_processor_mode 1
		.amdhsa_memory_ordered 1
		.amdhsa_forward_progress 0
		.amdhsa_shared_vgpr_count 0
		.amdhsa_exception_fp_ieee_invalid_op 0
		.amdhsa_exception_fp_denorm_src 0
		.amdhsa_exception_fp_ieee_div_zero 0
		.amdhsa_exception_fp_ieee_overflow 0
		.amdhsa_exception_fp_ieee_underflow 0
		.amdhsa_exception_fp_ieee_inexact 0
		.amdhsa_exception_int_div_zero 0
	.end_amdhsa_kernel
	.text
.Lfunc_end0:
	.size	bluestein_single_back_len96_dim1_dp_op_CI_CI, .Lfunc_end0-bluestein_single_back_len96_dim1_dp_op_CI_CI
                                        ; -- End function
	.section	.AMDGPU.csdata,"",@progbits
; Kernel info:
; codeLenInByte = 7104
; NumSgprs: 22
; NumVgprs: 217
; ScratchSize: 0
; MemoryBound: 0
; FloatMode: 240
; IeeeMode: 1
; LDSByteSize: 12288 bytes/workgroup (compile time only)
; SGPRBlocks: 2
; VGPRBlocks: 27
; NumSGPRsForWavesPerEU: 22
; NumVGPRsForWavesPerEU: 217
; Occupancy: 4
; WaveLimiterHint : 1
; COMPUTE_PGM_RSRC2:SCRATCH_EN: 0
; COMPUTE_PGM_RSRC2:USER_SGPR: 6
; COMPUTE_PGM_RSRC2:TRAP_HANDLER: 0
; COMPUTE_PGM_RSRC2:TGID_X_EN: 1
; COMPUTE_PGM_RSRC2:TGID_Y_EN: 0
; COMPUTE_PGM_RSRC2:TGID_Z_EN: 0
; COMPUTE_PGM_RSRC2:TIDIG_COMP_CNT: 0
	.text
	.p2alignl 6, 3214868480
	.fill 48, 4, 3214868480
	.type	__hip_cuid_49fe277bc04c1278,@object ; @__hip_cuid_49fe277bc04c1278
	.section	.bss,"aw",@nobits
	.globl	__hip_cuid_49fe277bc04c1278
__hip_cuid_49fe277bc04c1278:
	.byte	0                               ; 0x0
	.size	__hip_cuid_49fe277bc04c1278, 1

	.ident	"AMD clang version 19.0.0git (https://github.com/RadeonOpenCompute/llvm-project roc-6.4.0 25133 c7fe45cf4b819c5991fe208aaa96edf142730f1d)"
	.section	".note.GNU-stack","",@progbits
	.addrsig
	.addrsig_sym __hip_cuid_49fe277bc04c1278
	.amdgpu_metadata
---
amdhsa.kernels:
  - .args:
      - .actual_access:  read_only
        .address_space:  global
        .offset:         0
        .size:           8
        .value_kind:     global_buffer
      - .actual_access:  read_only
        .address_space:  global
        .offset:         8
        .size:           8
        .value_kind:     global_buffer
      - .actual_access:  read_only
        .address_space:  global
        .offset:         16
        .size:           8
        .value_kind:     global_buffer
      - .actual_access:  read_only
        .address_space:  global
        .offset:         24
        .size:           8
        .value_kind:     global_buffer
      - .actual_access:  read_only
        .address_space:  global
        .offset:         32
        .size:           8
        .value_kind:     global_buffer
      - .offset:         40
        .size:           8
        .value_kind:     by_value
      - .address_space:  global
        .offset:         48
        .size:           8
        .value_kind:     global_buffer
      - .address_space:  global
        .offset:         56
        .size:           8
        .value_kind:     global_buffer
      - .address_space:  global
        .offset:         64
        .size:           8
        .value_kind:     global_buffer
      - .address_space:  global
        .offset:         72
        .size:           8
        .value_kind:     global_buffer
      - .offset:         80
        .size:           4
        .value_kind:     by_value
      - .address_space:  global
        .offset:         88
        .size:           8
        .value_kind:     global_buffer
      - .address_space:  global
        .offset:         96
        .size:           8
        .value_kind:     global_buffer
    .group_segment_fixed_size: 12288
    .kernarg_segment_align: 8
    .kernarg_segment_size: 104
    .language:       OpenCL C
    .language_version:
      - 2
      - 0
    .max_flat_workgroup_size: 128
    .name:           bluestein_single_back_len96_dim1_dp_op_CI_CI
    .private_segment_fixed_size: 0
    .sgpr_count:     22
    .sgpr_spill_count: 0
    .symbol:         bluestein_single_back_len96_dim1_dp_op_CI_CI.kd
    .uniform_work_group_size: 1
    .uses_dynamic_stack: false
    .vgpr_count:     217
    .vgpr_spill_count: 0
    .wavefront_size: 32
    .workgroup_processor_mode: 1
amdhsa.target:   amdgcn-amd-amdhsa--gfx1030
amdhsa.version:
  - 1
  - 2
...

	.end_amdgpu_metadata
